;; amdgpu-corpus repo=zjin-lcf/HeCBench kind=compiled arch=gfx1100 opt=O3
	.text
	.amdgcn_target "amdgcn-amd-amdhsa--gfx1100"
	.amdhsa_code_object_version 6
	.protected	_Z6kernelPdS_PKdS1_ii   ; -- Begin function _Z6kernelPdS_PKdS1_ii
	.globl	_Z6kernelPdS_PKdS1_ii
	.p2align	8
	.type	_Z6kernelPdS_PKdS1_ii,@function
_Z6kernelPdS_PKdS1_ii:                  ; @_Z6kernelPdS_PKdS1_ii
; %bb.0:
	s_clause 0x1
	s_load_b32 s2, s[0:1], 0x34
	s_load_b64 s[8:9], s[0:1], 0x20
	s_waitcnt lgkmcnt(0)
	s_and_b32 s2, s2, 0xffff
	s_delay_alu instid0(SALU_CYCLE_1) | instskip(SKIP_1) | instid1(VALU_DEP_1)
	v_mad_u64_u32 v[2:3], null, s15, s2, v[0:1]
	s_mov_b32 s2, exec_lo
	v_cmpx_gt_i32_e64 s9, v2
	s_cbranch_execz .LBB0_13
; %bb.1:
	s_load_b64 s[2:3], s[0:1], 0x0
	s_cmp_lt_i32 s8, 1
	s_cbranch_scc1 .LBB0_8
; %bb.2:
	s_clause 0x1
	s_load_b128 s[4:7], s[0:1], 0x8
	s_load_b64 s[0:1], s[0:1], 0x18
	v_ashrrev_i32_e32 v3, 31, v2
	v_mov_b32_e32 v0, 0
	v_dual_mov_b32 v1, 0 :: v_dual_mov_b32 v4, 0x3ff00000
	s_delay_alu instid0(VALU_DEP_3) | instskip(SKIP_2) | instid1(VALU_DEP_2)
	v_lshlrev_b64 v[5:6], 3, v[2:3]
	v_mov_b32_e32 v3, 0
	s_waitcnt lgkmcnt(0)
	v_add_co_u32 v5, vcc_lo, s6, v5
	s_delay_alu instid0(VALU_DEP_3) | instskip(SKIP_1) | instid1(SALU_CYCLE_1)
	v_add_co_ci_u32_e32 v6, vcc_lo, s7, v6, vcc_lo
	s_mov_b32 s7, 0
	s_mov_b32 s6, s7
	s_branch .LBB0_4
.LBB0_3:                                ;   in Loop: Header=BB0_4 Depth=1
	s_set_inst_prefetch_distance 0x2
	v_add_f64 v[0:1], v[0:1], |v[9:10]|
	s_add_i32 s6, s6, 1
	s_delay_alu instid0(SALU_CYCLE_1)
	s_cmp_eq_u32 s6, s8
	s_cbranch_scc1 .LBB0_9
.LBB0_4:                                ; =>This Loop Header: Depth=1
                                        ;     Child Loop BB0_6 Depth 2
	v_mad_u64_u32 v[7:8], null, s6, s9, v[2:3]
	v_mov_b32_e32 v9, 0
	s_lshl_b64 s[10:11], s[6:7], 3
	v_mov_b32_e32 v10, 0x3ff00000
	s_add_u32 s10, s0, s10
	s_addc_u32 s11, s1, s11
	s_mov_b64 s[12:13], s[0:1]
	s_delay_alu instid0(VALU_DEP_3) | instskip(SKIP_1) | instid1(VALU_DEP_1)
	v_ashrrev_i32_e32 v8, 31, v7
	s_mov_b32 s14, 0
	v_lshlrev_b64 v[7:8], 3, v[7:8]
	s_delay_alu instid0(VALU_DEP_1) | instskip(NEXT) | instid1(VALU_DEP_2)
	v_add_co_u32 v7, vcc_lo, s4, v7
	v_add_co_ci_u32_e32 v8, vcc_lo, s5, v8, vcc_lo
	global_store_b64 v[7:8], v[3:4], off
	s_set_inst_prefetch_distance 0x1
	s_branch .LBB0_6
	.p2align	6
.LBB0_5:                                ;   in Loop: Header=BB0_6 Depth=2
	s_add_i32 s14, s14, 1
	s_add_u32 s12, s12, 8
	s_addc_u32 s13, s13, 0
	s_cmp_eq_u32 s8, s14
	s_cbranch_scc1 .LBB0_3
.LBB0_6:                                ;   Parent Loop BB0_4 Depth=1
                                        ; =>  This Inner Loop Header: Depth=2
	s_cmp_eq_u32 s6, s14
	s_cbranch_scc1 .LBB0_5
; %bb.7:                                ;   in Loop: Header=BB0_6 Depth=2
	global_load_b64 v[11:12], v[5:6], off
	s_load_b64 s[16:17], s[12:13], 0x0
	s_load_b64 s[18:19], s[10:11], 0x0
	s_waitcnt lgkmcnt(0)
	v_add_f64 v[13:14], s[18:19], -s[16:17]
	s_waitcnt vmcnt(0)
	v_add_f64 v[11:12], v[11:12], -s[16:17]
	s_delay_alu instid0(VALU_DEP_1) | instskip(NEXT) | instid1(VALU_DEP_1)
	v_mul_f64 v[9:10], v[9:10], v[11:12]
	v_div_scale_f64 v[11:12], null, v[13:14], v[13:14], v[9:10]
	s_delay_alu instid0(VALU_DEP_1) | instskip(SKIP_2) | instid1(VALU_DEP_1)
	v_rcp_f64_e32 v[15:16], v[11:12]
	s_waitcnt_depctr 0xfff
	v_fma_f64 v[17:18], -v[11:12], v[15:16], 1.0
	v_fma_f64 v[15:16], v[15:16], v[17:18], v[15:16]
	s_delay_alu instid0(VALU_DEP_1) | instskip(NEXT) | instid1(VALU_DEP_1)
	v_fma_f64 v[17:18], -v[11:12], v[15:16], 1.0
	v_fma_f64 v[15:16], v[15:16], v[17:18], v[15:16]
	v_div_scale_f64 v[17:18], vcc_lo, v[9:10], v[13:14], v[9:10]
	s_delay_alu instid0(VALU_DEP_1) | instskip(NEXT) | instid1(VALU_DEP_1)
	v_mul_f64 v[19:20], v[17:18], v[15:16]
	v_fma_f64 v[11:12], -v[11:12], v[19:20], v[17:18]
	s_delay_alu instid0(VALU_DEP_1) | instskip(NEXT) | instid1(VALU_DEP_1)
	v_div_fmas_f64 v[11:12], v[11:12], v[15:16], v[19:20]
	v_div_fixup_f64 v[9:10], v[11:12], v[13:14], v[9:10]
	global_store_b64 v[7:8], v[9:10], off
	s_branch .LBB0_5
.LBB0_8:
	v_mov_b32_e32 v0, 0
	v_mov_b32_e32 v1, 0
.LBB0_9:
	v_mov_b32_e32 v4, 0
	s_delay_alu instid0(VALU_DEP_2)
	v_cmp_eq_f64_e32 vcc_lo, 0, v[0:1]
	s_brev_b32 s5, 1
	s_mov_b32 s4, 0
                                        ; implicit-def: $sgpr1
	s_waitcnt lgkmcnt(0)
	global_load_b64 v[2:3], v4, s[2:3] glc
	s_waitcnt vmcnt(0)
	v_cmp_eq_u64_e64 s6, s[4:5], v[2:3]
                                        ; implicit-def: $sgpr5
	s_set_inst_prefetch_distance 0x1
	s_branch .LBB0_11
	.p2align	6
.LBB0_10:                               ;   in Loop: Header=BB0_11 Depth=1
	s_or_b32 exec_lo, exec_lo, s7
	s_delay_alu instid0(SALU_CYCLE_1) | instskip(NEXT) | instid1(SALU_CYCLE_1)
	s_and_b32 s0, exec_lo, s1
	s_or_b32 s4, s0, s4
	s_and_not1_b32 s0, s6, exec_lo
	s_and_b32 s6, s5, exec_lo
	s_delay_alu instid0(SALU_CYCLE_1)
	s_or_b32 s6, s0, s6
	s_and_not1_b32 exec_lo, exec_lo, s4
	s_cbranch_execz .LBB0_13
.LBB0_11:                               ; =>This Inner Loop Header: Depth=1
	v_cmp_lt_f64_e64 s0, v[2:3], v[0:1]
	s_delay_alu instid0(VALU_DEP_2) | instskip(SKIP_2) | instid1(VALU_DEP_1)
	s_and_b32 s7, vcc_lo, s6
	s_and_not1_b32 s5, s5, exec_lo
	s_or_b32 s1, s1, exec_lo
	s_or_b32 s0, s0, s7
	s_delay_alu instid0(SALU_CYCLE_1)
	s_and_saveexec_b32 s7, s0
	s_cbranch_execz .LBB0_10
; %bb.12:                               ;   in Loop: Header=BB0_11 Depth=1
	global_atomic_cmpswap_b64 v[5:6], v4, v[0:3], s[2:3] glc
	s_and_not1_b32 s5, s5, exec_lo
	s_and_not1_b32 s1, s1, exec_lo
	s_waitcnt vmcnt(0)
	v_cmp_eq_u64_e64 s0, v[5:6], v[2:3]
	s_delay_alu instid0(VALU_DEP_1) | instskip(SKIP_2) | instid1(SALU_CYCLE_1)
	v_cndmask_b32_e64 v3, v6, v3, s0
	v_cndmask_b32_e64 v2, v5, v2, s0
	s_and_b32 s0, s0, exec_lo
	s_or_b32 s1, s1, s0
	s_delay_alu instid0(VALU_DEP_1) | instskip(SKIP_1) | instid1(VALU_DEP_2)
	v_cmp_class_f64_e64 s6, v[2:3], 32
	v_dual_mov_b32 v2, v5 :: v_dual_mov_b32 v3, v6
	s_and_b32 s6, s6, exec_lo
	s_delay_alu instid0(SALU_CYCLE_1)
	s_or_b32 s5, s5, s6
                                        ; implicit-def: $sgpr6
	s_branch .LBB0_10
.LBB0_13:
	s_set_inst_prefetch_distance 0x2
	s_nop 0
	s_sendmsg sendmsg(MSG_DEALLOC_VGPRS)
	s_endpgm
	.section	.rodata,"a",@progbits
	.p2align	6, 0x0
	.amdhsa_kernel _Z6kernelPdS_PKdS1_ii
		.amdhsa_group_segment_fixed_size 0
		.amdhsa_private_segment_fixed_size 0
		.amdhsa_kernarg_size 296
		.amdhsa_user_sgpr_count 15
		.amdhsa_user_sgpr_dispatch_ptr 0
		.amdhsa_user_sgpr_queue_ptr 0
		.amdhsa_user_sgpr_kernarg_segment_ptr 1
		.amdhsa_user_sgpr_dispatch_id 0
		.amdhsa_user_sgpr_private_segment_size 0
		.amdhsa_wavefront_size32 1
		.amdhsa_uses_dynamic_stack 0
		.amdhsa_enable_private_segment 0
		.amdhsa_system_sgpr_workgroup_id_x 1
		.amdhsa_system_sgpr_workgroup_id_y 0
		.amdhsa_system_sgpr_workgroup_id_z 0
		.amdhsa_system_sgpr_workgroup_info 0
		.amdhsa_system_vgpr_workitem_id 0
		.amdhsa_next_free_vgpr 21
		.amdhsa_next_free_sgpr 20
		.amdhsa_reserve_vcc 1
		.amdhsa_float_round_mode_32 0
		.amdhsa_float_round_mode_16_64 0
		.amdhsa_float_denorm_mode_32 3
		.amdhsa_float_denorm_mode_16_64 3
		.amdhsa_dx10_clamp 1
		.amdhsa_ieee_mode 1
		.amdhsa_fp16_overflow 0
		.amdhsa_workgroup_processor_mode 1
		.amdhsa_memory_ordered 1
		.amdhsa_forward_progress 0
		.amdhsa_shared_vgpr_count 0
		.amdhsa_exception_fp_ieee_invalid_op 0
		.amdhsa_exception_fp_denorm_src 0
		.amdhsa_exception_fp_ieee_div_zero 0
		.amdhsa_exception_fp_ieee_overflow 0
		.amdhsa_exception_fp_ieee_underflow 0
		.amdhsa_exception_fp_ieee_inexact 0
		.amdhsa_exception_int_div_zero 0
	.end_amdhsa_kernel
	.text
.Lfunc_end0:
	.size	_Z6kernelPdS_PKdS1_ii, .Lfunc_end0-_Z6kernelPdS_PKdS1_ii
                                        ; -- End function
	.section	.AMDGPU.csdata,"",@progbits
; Kernel info:
; codeLenInByte = 732
; NumSgprs: 22
; NumVgprs: 21
; ScratchSize: 0
; MemoryBound: 1
; FloatMode: 240
; IeeeMode: 1
; LDSByteSize: 0 bytes/workgroup (compile time only)
; SGPRBlocks: 2
; VGPRBlocks: 2
; NumSGPRsForWavesPerEU: 22
; NumVGPRsForWavesPerEU: 21
; Occupancy: 16
; WaveLimiterHint : 0
; COMPUTE_PGM_RSRC2:SCRATCH_EN: 0
; COMPUTE_PGM_RSRC2:USER_SGPR: 15
; COMPUTE_PGM_RSRC2:TRAP_HANDLER: 0
; COMPUTE_PGM_RSRC2:TGID_X_EN: 1
; COMPUTE_PGM_RSRC2:TGID_Y_EN: 0
; COMPUTE_PGM_RSRC2:TGID_Z_EN: 0
; COMPUTE_PGM_RSRC2:TIDIG_COMP_CNT: 0
	.text
	.p2alignl 7, 3214868480
	.fill 96, 4, 3214868480
	.type	__hip_cuid_c43609d3276a9b16,@object ; @__hip_cuid_c43609d3276a9b16
	.section	.bss,"aw",@nobits
	.globl	__hip_cuid_c43609d3276a9b16
__hip_cuid_c43609d3276a9b16:
	.byte	0                               ; 0x0
	.size	__hip_cuid_c43609d3276a9b16, 1

	.ident	"AMD clang version 19.0.0git (https://github.com/RadeonOpenCompute/llvm-project roc-6.4.0 25133 c7fe45cf4b819c5991fe208aaa96edf142730f1d)"
	.section	".note.GNU-stack","",@progbits
	.addrsig
	.addrsig_sym __hip_cuid_c43609d3276a9b16
	.amdgpu_metadata
---
amdhsa.kernels:
  - .args:
      - .address_space:  global
        .offset:         0
        .size:           8
        .value_kind:     global_buffer
      - .actual_access:  write_only
        .address_space:  global
        .offset:         8
        .size:           8
        .value_kind:     global_buffer
      - .actual_access:  read_only
        .address_space:  global
        .offset:         16
        .size:           8
        .value_kind:     global_buffer
      - .actual_access:  read_only
        .address_space:  global
        .offset:         24
        .size:           8
        .value_kind:     global_buffer
      - .offset:         32
        .size:           4
        .value_kind:     by_value
      - .offset:         36
        .size:           4
        .value_kind:     by_value
      - .offset:         40
        .size:           4
        .value_kind:     hidden_block_count_x
      - .offset:         44
        .size:           4
        .value_kind:     hidden_block_count_y
      - .offset:         48
        .size:           4
        .value_kind:     hidden_block_count_z
      - .offset:         52
        .size:           2
        .value_kind:     hidden_group_size_x
      - .offset:         54
        .size:           2
        .value_kind:     hidden_group_size_y
      - .offset:         56
        .size:           2
        .value_kind:     hidden_group_size_z
      - .offset:         58
        .size:           2
        .value_kind:     hidden_remainder_x
      - .offset:         60
        .size:           2
        .value_kind:     hidden_remainder_y
      - .offset:         62
        .size:           2
        .value_kind:     hidden_remainder_z
      - .offset:         80
        .size:           8
        .value_kind:     hidden_global_offset_x
      - .offset:         88
        .size:           8
        .value_kind:     hidden_global_offset_y
      - .offset:         96
        .size:           8
        .value_kind:     hidden_global_offset_z
      - .offset:         104
        .size:           2
        .value_kind:     hidden_grid_dims
    .group_segment_fixed_size: 0
    .kernarg_segment_align: 8
    .kernarg_segment_size: 296
    .language:       OpenCL C
    .language_version:
      - 2
      - 0
    .max_flat_workgroup_size: 1024
    .name:           _Z6kernelPdS_PKdS1_ii
    .private_segment_fixed_size: 0
    .sgpr_count:     22
    .sgpr_spill_count: 0
    .symbol:         _Z6kernelPdS_PKdS1_ii.kd
    .uniform_work_group_size: 1
    .uses_dynamic_stack: false
    .vgpr_count:     21
    .vgpr_spill_count: 0
    .wavefront_size: 32
    .workgroup_processor_mode: 1
amdhsa.target:   amdgcn-amd-amdhsa--gfx1100
amdhsa.version:
  - 1
  - 2
...

	.end_amdgpu_metadata
